;; amdgpu-corpus repo=ROCm/rocFFT kind=compiled arch=gfx906 opt=O3
	.text
	.amdgcn_target "amdgcn-amd-amdhsa--gfx906"
	.amdhsa_code_object_version 6
	.protected	fft_rtc_fwd_len81_factors_9_3_3_wgs_189_tpt_9_dim1_dp_op_CI_CI_sbrr_dirReg ; -- Begin function fft_rtc_fwd_len81_factors_9_3_3_wgs_189_tpt_9_dim1_dp_op_CI_CI_sbrr_dirReg
	.globl	fft_rtc_fwd_len81_factors_9_3_3_wgs_189_tpt_9_dim1_dp_op_CI_CI_sbrr_dirReg
	.p2align	8
	.type	fft_rtc_fwd_len81_factors_9_3_3_wgs_189_tpt_9_dim1_dp_op_CI_CI_sbrr_dirReg,@function
fft_rtc_fwd_len81_factors_9_3_3_wgs_189_tpt_9_dim1_dp_op_CI_CI_sbrr_dirReg: ; @fft_rtc_fwd_len81_factors_9_3_3_wgs_189_tpt_9_dim1_dp_op_CI_CI_sbrr_dirReg
; %bb.0:
	v_mul_u32_u24_e32 v1, 0x1c72, v0
	s_load_dwordx2 s[0:1], s[4:5], 0x20
	v_lshrrev_b32_e32 v1, 16, v1
	v_mad_u64_u32 v[36:37], s[2:3], s6, 21, v[1:2]
	s_load_dwordx2 s[2:3], s[4:5], 0x0
	v_mov_b32_e32 v37, 0
	s_waitcnt lgkmcnt(0)
	v_cmp_gt_u64_e32 vcc, s[0:1], v[36:37]
	v_cmp_le_u64_e64 s[0:1], s[0:1], v[36:37]
	s_movk_i32 s6, 0x1c72
                                        ; implicit-def: $vgpr37
                                        ; implicit-def: $vgpr38
                                        ; implicit-def: $vgpr39
	s_and_saveexec_b64 s[8:9], s[0:1]
	s_xor_b64 s[0:1], exec, s[8:9]
; %bb.1:
	v_mul_u32_u24_sdwa v1, v0, s6 dst_sel:DWORD dst_unused:UNUSED_PAD src0_sel:WORD_0 src1_sel:DWORD
	v_mov_b32_e32 v2, 9
	v_mul_lo_u16_sdwa v1, v1, v2 dst_sel:DWORD dst_unused:UNUSED_PAD src0_sel:WORD_1 src1_sel:DWORD
	v_sub_u16_e32 v37, v0, v1
	v_add_u32_e32 v38, 9, v37
	v_add_u32_e32 v39, 18, v37
                                        ; implicit-def: $vgpr1
                                        ; implicit-def: $vgpr0
; %bb.2:
	s_or_saveexec_b64 s[6:7], s[0:1]
	s_load_dwordx2 s[14:15], s[4:5], 0x18
                                        ; implicit-def: $vgpr34_vgpr35
                                        ; implicit-def: $vgpr26_vgpr27
                                        ; implicit-def: $vgpr18_vgpr19
                                        ; implicit-def: $vgpr6_vgpr7
                                        ; implicit-def: $vgpr10_vgpr11
                                        ; implicit-def: $vgpr14_vgpr15
                                        ; implicit-def: $vgpr22_vgpr23
                                        ; implicit-def: $vgpr30_vgpr31
                                        ; implicit-def: $vgpr2_vgpr3
	s_xor_b64 exec, exec, s[6:7]
	s_cbranch_execz .LBB0_4
; %bb.3:
	s_load_dwordx2 s[0:1], s[4:5], 0x10
	s_load_dwordx2 s[12:13], s[4:5], 0x50
	v_mul_lo_u16_e32 v1, 9, v1
	v_sub_u16_e32 v37, v0, v1
	v_add_u32_e32 v38, 9, v37
	s_waitcnt lgkmcnt(0)
	s_load_dwordx4 s[8:11], s[0:1], 0x0
	v_add_u32_e32 v39, 18, v37
	s_waitcnt lgkmcnt(0)
	v_mad_u64_u32 v[0:1], s[0:1], s10, v36, 0
	v_mad_u64_u32 v[2:3], s[0:1], s8, v37, 0
	;; [unrolled: 1-line block ×4, first 2 shown]
	v_mov_b32_e32 v1, v4
	v_lshlrev_b64 v[0:1], 4, v[0:1]
	v_mov_b32_e32 v3, v5
	v_mad_u64_u32 v[4:5], s[0:1], s8, v38, 0
	v_mov_b32_e32 v6, s13
	v_add_co_u32_e64 v8, s[0:1], s12, v0
	v_addc_co_u32_e64 v9, s[0:1], v6, v1, s[0:1]
	v_lshlrev_b64 v[0:1], 4, v[2:3]
	v_mov_b32_e32 v2, v5
	v_mad_u64_u32 v[2:3], s[0:1], s9, v38, v[2:3]
	v_mad_u64_u32 v[6:7], s[0:1], s8, v39, 0
	v_add_co_u32_e64 v40, s[0:1], v8, v0
	v_mov_b32_e32 v5, v2
	v_mov_b32_e32 v2, v7
	v_addc_co_u32_e64 v41, s[0:1], v9, v1, s[0:1]
	v_lshlrev_b64 v[0:1], 4, v[4:5]
	v_mad_u64_u32 v[2:3], s[0:1], s9, v39, v[2:3]
	v_add_u32_e32 v5, 27, v37
	v_mad_u64_u32 v[3:4], s[0:1], s8, v5, 0
	v_add_co_u32_e64 v42, s[0:1], v8, v0
	v_mov_b32_e32 v7, v2
	v_mov_b32_e32 v2, v4
	v_addc_co_u32_e64 v43, s[0:1], v9, v1, s[0:1]
	v_lshlrev_b64 v[0:1], 4, v[6:7]
	v_mad_u64_u32 v[4:5], s[0:1], s9, v5, v[2:3]
	v_add_u32_e32 v7, 36, v37
	v_mad_u64_u32 v[5:6], s[0:1], s8, v7, 0
	v_add_co_u32_e64 v44, s[0:1], v8, v0
	v_mov_b32_e32 v2, v6
	v_addc_co_u32_e64 v45, s[0:1], v9, v1, s[0:1]
	v_lshlrev_b64 v[0:1], 4, v[3:4]
	v_mad_u64_u32 v[2:3], s[0:1], s9, v7, v[2:3]
	v_add_u32_e32 v7, 45, v37
	v_mad_u64_u32 v[3:4], s[0:1], s8, v7, 0
	v_add_co_u32_e64 v46, s[0:1], v8, v0
	v_mov_b32_e32 v6, v2
	v_mov_b32_e32 v2, v4
	v_addc_co_u32_e64 v47, s[0:1], v9, v1, s[0:1]
	v_lshlrev_b64 v[0:1], 4, v[5:6]
	v_mad_u64_u32 v[4:5], s[0:1], s9, v7, v[2:3]
	v_add_u32_e32 v7, 54, v37
	v_mad_u64_u32 v[5:6], s[0:1], s8, v7, 0
	v_add_co_u32_e64 v48, s[0:1], v8, v0
	;; [unrolled: 15-line block ×3, first 2 shown]
	v_mov_b32_e32 v2, v6
	v_addc_co_u32_e64 v53, s[0:1], v9, v1, s[0:1]
	v_lshlrev_b64 v[0:1], 4, v[3:4]
	v_mad_u64_u32 v[2:3], s[0:1], s9, v7, v[2:3]
	v_add_co_u32_e64 v54, s[0:1], v8, v0
	v_mov_b32_e32 v6, v2
	v_addc_co_u32_e64 v55, s[0:1], v9, v1, s[0:1]
	v_lshlrev_b64 v[0:1], 4, v[5:6]
	v_add_co_u32_e64 v56, s[0:1], v8, v0
	v_addc_co_u32_e64 v57, s[0:1], v9, v1, s[0:1]
	global_load_dwordx4 v[0:3], v[40:41], off
	global_load_dwordx4 v[28:31], v[42:43], off
	;; [unrolled: 1-line block ×9, first 2 shown]
.LBB0_4:
	s_or_b64 exec, exec, s[6:7]
	s_waitcnt vmcnt(0)
	v_add_f64 v[40:41], v[32:33], v[28:29]
	v_add_f64 v[42:43], v[34:35], v[30:31]
	;; [unrolled: 1-line block ×4, first 2 shown]
	v_add_f64 v[28:29], v[28:29], -v[32:33]
	v_add_f64 v[32:33], v[16:17], v[12:13]
	v_add_f64 v[48:49], v[18:19], v[14:15]
	v_add_f64 v[20:21], v[20:21], -v[24:25]
	v_add_f64 v[14:15], v[14:15], -v[18:19]
	s_mov_b32 s0, 0x86186187
	v_add_f64 v[50:51], v[44:45], v[40:41]
	v_add_f64 v[52:53], v[46:47], v[42:43]
	v_add_f64 v[30:31], v[30:31], -v[34:35]
	v_add_f64 v[22:23], v[22:23], -v[26:27]
	;; [unrolled: 1-line block ×5, first 2 shown]
	v_add_f64 v[34:35], v[4:5], v[8:9]
	v_add_f64 v[18:19], v[32:33], v[50:51]
	;; [unrolled: 1-line block ×4, first 2 shown]
	v_mul_hi_u32 v56, v36, s0
	s_mov_b32 s1, 0x3fe491b7
	s_mov_b32 s0, 0x523c161c
	s_mov_b32 s8, 0xa2cf5039
	s_mov_b32 s10, 0x8c811c17
	v_add_f64 v[8:9], v[8:9], v[18:19]
	v_add_f64 v[10:11], v[10:11], v[24:25]
	v_sub_u32_e32 v18, v36, v56
	v_lshrrev_b32_e32 v18, 1, v18
	v_add_u32_e32 v18, v18, v56
	v_lshrrev_b32_e32 v18, 4, v18
	v_mul_lo_u32 v56, v18, 21
	v_mul_f64 v[18:19], v[28:29], s[0:1]
	v_add_f64 v[8:9], v[4:5], v[8:9]
	v_add_f64 v[10:11], v[6:7], v[10:11]
	s_mov_b32 s9, 0x3fe8836f
	s_mov_b32 s11, 0x3fef838b
	v_mul_f64 v[24:25], v[30:31], s[0:1]
	v_sub_u32_e32 v4, v36, v56
	v_fma_f64 v[56:57], v[42:43], s[8:9], v[2:3]
	v_fma_f64 v[18:19], v[20:21], s[10:11], v[18:19]
	v_add_f64 v[5:6], v[0:1], v[8:9]
	v_add_f64 v[7:8], v[2:3], v[10:11]
	v_fma_f64 v[9:10], v[40:41], s[8:9], v[0:1]
	s_mov_b32 s16, 0x7e0b738b
	s_mov_b32 s17, 0x3fc63a1a
	;; [unrolled: 1-line block ×4, first 2 shown]
	v_fma_f64 v[24:25], v[22:23], s[10:11], v[24:25]
	v_fma_f64 v[56:57], v[46:47], s[16:17], v[56:57]
	;; [unrolled: 1-line block ×4, first 2 shown]
	v_mul_u32_u24_e32 v4, 0x51, v4
	s_movk_i32 s12, 0x90
	v_lshl_add_u32 v4, v4, 4, 0
	s_mov_b32 s18, 0x748a0bf8
	v_mad_u32_u24 v62, v37, s12, v4
	s_mov_b32 s19, 0x3fd5e3a8
	s_mov_b32 s1, 0xbfe491b7
	ds_write_b128 v62, v[5:8]
	v_fma_f64 v[5:6], v[14:15], s[6:7], v[24:25]
	v_fma_f64 v[7:8], v[32:33], -0.5, v[9:10]
	v_fma_f64 v[9:10], v[48:49], -0.5, v[56:57]
	v_fma_f64 v[24:25], v[16:17], s[18:19], v[18:19]
	v_mul_f64 v[18:19], v[16:17], s[0:1]
	s_mov_b32 s20, 0x42522d1b
	s_mov_b32 s21, 0xbfee11f6
	;; [unrolled: 1-line block ×3, first 2 shown]
	v_fma_f64 v[56:57], v[26:27], s[18:19], v[5:6]
	v_fma_f64 v[5:6], v[34:35], s[20:21], v[7:8]
	;; [unrolled: 1-line block ×3, first 2 shown]
	s_mov_b32 s12, s6
	v_fma_f64 v[9:10], v[28:29], s[10:11], v[18:19]
	v_add_f64 v[18:19], v[16:17], v[28:29]
	v_mul_f64 v[16:17], v[16:17], s[10:11]
	v_fma_f64 v[60:61], v[46:47], s[8:9], v[2:3]
	v_add_f64 v[52:53], v[54:55], v[52:53]
	v_add_f64 v[5:6], v[56:57], v[5:6]
	v_add_f64 v[7:8], v[7:8], -v[24:25]
	v_fma_f64 v[9:10], v[12:13], s[12:13], v[9:10]
	v_fma_f64 v[16:17], v[20:21], s[0:1], -v[16:17]
	ds_write_b128 v62, v[5:8] offset:16
	v_fma_f64 v[58:59], v[20:21], s[18:19], v[9:10]
	v_add_f64 v[9:10], v[18:19], -v[20:21]
	v_fma_f64 v[18:19], v[34:35], s[8:9], v[0:1]
	v_fma_f64 v[20:21], v[44:45], s[8:9], v[0:1]
	;; [unrolled: 1-line block ×3, first 2 shown]
	v_add_f64 v[16:17], v[34:35], v[50:51]
	v_mul_f64 v[50:51], v[26:27], s[10:11]
	v_add_f64 v[0:1], v[32:33], v[0:1]
	v_fma_f64 v[18:19], v[40:41], s[16:17], v[18:19]
	v_fma_f64 v[20:21], v[34:35], s[16:17], v[20:21]
	v_mul_f64 v[34:35], v[26:27], s[0:1]
	v_add_f64 v[26:27], v[26:27], v[30:31]
	v_fma_f64 v[50:51], v[22:23], s[0:1], -v[50:51]
	v_fma_f64 v[0:1], v[16:17], -0.5, v[0:1]
	v_fma_f64 v[28:29], v[28:29], s[18:19], v[11:12]
	v_fma_f64 v[18:19], v[32:33], -0.5, v[18:19]
	v_fma_f64 v[20:21], v[32:33], -0.5, v[20:21]
	v_fma_f64 v[34:35], v[30:31], s[10:11], v[34:35]
	v_add_f64 v[26:27], v[26:27], -v[22:23]
	v_fma_f64 v[18:19], v[44:45], s[20:21], v[18:19]
	v_fma_f64 v[44:45], v[54:55], s[8:9], v[2:3]
	;; [unrolled: 1-line block ×5, first 2 shown]
	v_add_f64 v[2:3], v[48:49], v[2:3]
	v_fma_f64 v[11:12], v[40:41], s[20:21], v[20:21]
	v_fma_f64 v[0:1], v[26:27], s[6:7], v[0:1]
	s_waitcnt lgkmcnt(0)
	s_load_dwordx4 s[8:11], s[14:15], 0x0
	v_fma_f64 v[44:45], v[42:43], s[16:17], v[44:45]
	v_fma_f64 v[30:31], v[30:31], s[18:19], v[13:14]
	v_fma_f64 v[32:33], v[48:49], -0.5, v[50:51]
	v_fma_f64 v[2:3], v[52:53], -0.5, v[2:3]
	;; [unrolled: 1-line block ×3, first 2 shown]
	v_fma_f64 v[13:14], v[42:43], s[20:21], v[32:33]
	v_fma_f64 v[32:33], v[22:23], s[18:19], v[34:35]
	v_mul_f64 v[21:22], v[26:27], s[6:7]
	v_fma_f64 v[2:3], v[9:10], s[12:13], v[2:3]
	v_mul_f64 v[26:27], v[9:10], s[6:7]
	v_fma_f64 v[15:16], v[46:47], s[20:21], v[15:16]
	v_add_f64 v[9:10], v[30:31], v[11:12]
	s_mov_b32 s6, 0xe8584caa
	v_add_f64 v[11:12], v[13:14], -v[28:29]
	v_add_f64 v[13:14], v[32:33], v[18:19]
	v_fma_f64 v[19:20], v[24:25], 2.0, v[7:8]
	v_fma_f64 v[21:22], v[21:22], -2.0, v[0:1]
	v_fma_f64 v[23:24], v[26:27], 2.0, v[2:3]
	v_add_f64 v[15:16], v[15:16], -v[58:59]
	v_fma_f64 v[25:26], v[30:31], -2.0, v[9:10]
	v_fma_f64 v[17:18], v[56:57], -2.0, v[5:6]
	v_fma_f64 v[27:28], v[28:29], 2.0, v[11:12]
	v_fma_f64 v[29:30], v[32:33], -2.0, v[13:14]
	v_lshl_add_u32 v6, v37, 4, v4
	s_mov_b32 s12, s6
	v_fma_f64 v[31:32], v[58:59], 2.0, v[15:16]
	ds_write_b128 v62, v[13:16] offset:32
	ds_write_b128 v62, v[0:3] offset:48
	;; [unrolled: 1-line block ×7, first 2 shown]
	v_lshlrev_b32_e32 v0, 1, v37
	v_mov_b32_e32 v1, 0
	v_lshlrev_b64 v[2:3], 4, v[0:1]
	v_mov_b32_e32 v0, s3
	v_add_co_u32_e64 v2, s[0:1], s2, v2
	v_addc_co_u32_e64 v3, s[0:1], v0, v3, s[0:1]
	s_waitcnt lgkmcnt(0)
	s_barrier
	global_load_dwordx4 v[7:10], v[2:3], off
	global_load_dwordx4 v[11:14], v[2:3], off offset:16
	v_mov_b32_e32 v0, 57
	v_mul_lo_u16_sdwa v0, v39, v0 dst_sel:DWORD dst_unused:UNUSED_PAD src0_sel:BYTE_0 src1_sel:DWORD
	v_lshrrev_b16_e32 v0, 9, v0
	v_mul_lo_u16_e32 v0, 9, v0
	v_sub_u16_e32 v0, v39, v0
	v_and_b32_e32 v0, 0xff, v0
	v_lshlrev_b32_e32 v5, 5, v0
	global_load_dwordx4 v[15:18], v5, s[2:3]
	global_load_dwordx4 v[19:22], v5, s[2:3] offset:16
	v_lshlrev_b32_e32 v5, 7, v37
	v_sub_u32_e32 v5, v62, v5
	ds_read_b128 v[23:26], v5 offset:432
	ds_read_b128 v[27:30], v6
	ds_read_b128 v[31:34], v5 offset:576
	ds_read_b128 v[40:43], v5 offset:720
	s_movk_i32 s0, 0x51
	v_lshl_add_u32 v0, v0, 4, v4
	s_waitcnt vmcnt(3) lgkmcnt(3)
	v_mul_f64 v[44:45], v[25:26], v[9:10]
	v_mul_f64 v[48:49], v[23:24], v[9:10]
	s_waitcnt lgkmcnt(1)
	v_mul_f64 v[50:51], v[33:34], v[9:10]
	v_mul_f64 v[9:10], v[31:32], v[9:10]
	v_fma_f64 v[52:53], v[23:24], v[7:8], -v[44:45]
	ds_read_b128 v[44:47], v5 offset:864
	v_fma_f64 v[48:49], v[25:26], v[7:8], v[48:49]
	ds_read_b128 v[23:26], v5 offset:1008
	v_fma_f64 v[31:32], v[31:32], v[7:8], -v[50:51]
	v_fma_f64 v[33:34], v[33:34], v[7:8], v[9:10]
	s_waitcnt vmcnt(2) lgkmcnt(1)
	v_mul_f64 v[7:8], v[46:47], v[13:14]
	v_mul_f64 v[9:10], v[44:45], v[13:14]
	s_waitcnt lgkmcnt(0)
	v_mul_f64 v[50:51], v[25:26], v[13:14]
	v_mul_f64 v[13:14], v[23:24], v[13:14]
	s_waitcnt vmcnt(1)
	v_mul_f64 v[54:55], v[42:43], v[17:18]
	v_mul_f64 v[17:18], v[40:41], v[17:18]
	v_fma_f64 v[44:45], v[44:45], v[11:12], -v[7:8]
	v_fma_f64 v[46:47], v[46:47], v[11:12], v[9:10]
	v_fma_f64 v[50:51], v[23:24], v[11:12], -v[50:51]
	v_fma_f64 v[56:57], v[25:26], v[11:12], v[13:14]
	ds_read_b128 v[8:11], v5 offset:1152
	v_lshl_add_u32 v7, v38, 4, v4
	ds_read_b128 v[23:26], v7
	v_fma_f64 v[40:41], v[40:41], v[15:16], -v[54:55]
	v_fma_f64 v[42:43], v[42:43], v[15:16], v[17:18]
	s_waitcnt vmcnt(0) lgkmcnt(1)
	v_mul_f64 v[12:13], v[10:11], v[21:22]
	v_mul_f64 v[14:15], v[8:9], v[21:22]
	v_add_f64 v[16:17], v[52:53], v[44:45]
	v_add_f64 v[21:22], v[48:49], v[46:47]
	v_fma_f64 v[54:55], v[8:9], v[19:20], -v[12:13]
	v_add_f64 v[8:9], v[29:30], v[48:49]
	v_fma_f64 v[58:59], v[10:11], v[19:20], v[14:15]
	v_add_f64 v[13:14], v[27:28], v[52:53]
	v_fma_f64 v[15:16], v[16:17], -0.5, v[27:28]
	v_add_f64 v[27:28], v[31:32], v[50:51]
	v_fma_f64 v[19:20], v[21:22], -0.5, v[29:30]
	v_add_f64 v[29:30], v[33:34], v[56:57]
	v_add_f64 v[17:18], v[48:49], -v[46:47]
	v_add_f64 v[21:22], v[52:53], -v[44:45]
	v_add_f64 v[11:12], v[8:9], v[46:47]
	v_add_f64 v[9:10], v[13:14], v[44:45]
	s_waitcnt lgkmcnt(0)
	v_add_f64 v[46:47], v[23:24], v[31:32]
	v_fma_f64 v[44:45], v[27:28], -0.5, v[23:24]
	v_add_f64 v[27:28], v[25:26], v[33:34]
	v_add_f64 v[52:53], v[42:43], v[58:59]
	v_fma_f64 v[48:49], v[29:30], -0.5, v[25:26]
	v_add_f64 v[29:30], v[40:41], v[54:55]
	v_lshl_add_u32 v8, v39, 4, v4
	v_fma_f64 v[13:14], v[17:18], s[6:7], v[15:16]
	v_fma_f64 v[17:18], v[17:18], s[12:13], v[15:16]
	;; [unrolled: 1-line block ×4, first 2 shown]
	ds_read_b128 v[21:24], v8
	v_add_f64 v[33:34], v[33:34], -v[56:57]
	v_add_f64 v[27:28], v[27:28], v[56:57]
	v_add_f64 v[25:26], v[46:47], v[50:51]
	v_add_f64 v[31:32], v[31:32], -v[50:51]
	s_waitcnt lgkmcnt(0)
	v_fma_f64 v[50:51], v[52:53], -0.5, v[23:24]
	v_add_f64 v[52:53], v[23:24], v[42:43]
	v_add_f64 v[56:57], v[21:22], v[40:41]
	v_fma_f64 v[46:47], v[29:30], -0.5, v[21:22]
	v_add_f64 v[60:61], v[42:43], -v[58:59]
	v_add_f64 v[62:63], v[40:41], -v[54:55]
	v_fma_f64 v[21:22], v[33:34], s[6:7], v[44:45]
	v_fma_f64 v[23:24], v[31:32], s[12:13], v[48:49]
	;; [unrolled: 1-line block ×3, first 2 shown]
	v_add_f64 v[42:43], v[52:53], v[58:59]
	v_add_f64 v[40:41], v[56:57], v[54:55]
	v_fma_f64 v[31:32], v[31:32], s[6:7], v[48:49]
	v_fma_f64 v[44:45], v[60:61], s[6:7], v[46:47]
	;; [unrolled: 1-line block ×5, first 2 shown]
	s_barrier
	ds_write_b128 v5, v[9:12]
	ds_write_b128 v5, v[13:16] offset:144
	ds_write_b128 v5, v[17:20] offset:288
	;; [unrolled: 1-line block ×8, first 2 shown]
	s_waitcnt lgkmcnt(0)
	s_barrier
	s_and_saveexec_b64 s[14:15], vcc
	s_cbranch_execz .LBB0_6
; %bb.5:
	global_load_dwordx4 v[9:12], v[2:3], off offset:288
	global_load_dwordx4 v[13:16], v[2:3], off offset:304
	v_lshlrev_b32_e32 v0, 1, v39
	v_lshlrev_b64 v[2:3], 4, v[0:1]
	v_mov_b32_e32 v4, s3
	v_add_co_u32_e32 v2, vcc, s2, v2
	v_addc_co_u32_e32 v3, vcc, v4, v3, vcc
	global_load_dwordx4 v[17:20], v[2:3], off offset:288
	global_load_dwordx4 v[21:24], v[2:3], off offset:304
	v_lshlrev_b32_e32 v0, 1, v38
	v_lshlrev_b64 v[0:1], 4, v[0:1]
	s_mov_b32 s1, 0x2f684bdb
	v_add_co_u32_e32 v29, vcc, s2, v0
	v_addc_co_u32_e32 v30, vcc, v4, v1, vcc
	global_load_dwordx4 v[0:3], v[29:30], off offset:288
	global_load_dwordx4 v[25:28], v[29:30], off offset:304
	ds_read_b128 v[29:32], v5 offset:432
	ds_read_b128 v[38:41], v5 offset:1008
	;; [unrolled: 1-line block ×3, first 2 shown]
	ds_read_b128 v[46:49], v6
	v_mul_hi_u32 v6, v37, s1
	v_mad_u64_u32 v[50:51], s[2:3], s10, v36, 0
	v_sub_u32_e32 v35, v37, v6
	v_lshrrev_b32_e32 v35, 1, v35
	v_add_u32_e32 v6, v35, v6
	v_mov_b32_e32 v4, v51
	v_lshrrev_b32_e32 v6, 4, v6
	v_mul_lo_u32 v51, v6, 27
	v_mad_u64_u32 v[35:36], s[2:3], s11, v36, v[4:5]
	v_sub_u32_e32 v60, v37, v51
	v_mov_b32_e32 v51, v35
	v_add_u32_e32 v62, 27, v60
	v_lshlrev_b64 v[50:51], 4, v[50:51]
	s_waitcnt vmcnt(5) lgkmcnt(3)
	v_mul_f64 v[33:34], v[11:12], v[31:32]
	v_mul_f64 v[31:32], v[9:10], v[31:32]
	s_waitcnt vmcnt(4) lgkmcnt(1)
	v_mul_f64 v[52:53], v[15:16], v[44:45]
	v_mul_f64 v[44:45], v[13:14], v[44:45]
	v_fma_f64 v[33:34], v[9:10], v[29:30], -v[33:34]
	v_fma_f64 v[54:55], v[29:30], v[11:12], v[31:32]
	ds_read_b128 v[9:12], v5 offset:720
	ds_read_b128 v[29:32], v5 offset:576
	v_fma_f64 v[52:53], v[13:14], v[42:43], -v[52:53]
	v_fma_f64 v[42:43], v[42:43], v[15:16], v[44:45]
	s_waitcnt vmcnt(3) lgkmcnt(1)
	v_mul_f64 v[15:16], v[19:20], v[11:12]
	v_mul_f64 v[44:45], v[17:18], v[11:12]
	ds_read_b128 v[11:14], v5 offset:1152
	ds_read_b128 v[4:7], v7
	s_waitcnt vmcnt(2) lgkmcnt(1)
	v_mul_f64 v[56:57], v[21:22], v[13:14]
	v_fma_f64 v[17:18], v[17:18], v[9:10], -v[15:16]
	v_fma_f64 v[9:10], v[9:10], v[19:20], v[44:45]
	v_mul_f64 v[19:20], v[23:24], v[13:14]
	v_mad_u64_u32 v[44:45], s[2:3], s8, v60, 0
	ds_read_b128 v[13:16], v8
	s_load_dwordx2 s[2:3], s[4:5], 0x58
	v_mov_b32_e32 v8, v45
	v_mad_u64_u32 v[35:36], s[4:5], s9, v60, v[8:9]
	v_fma_f64 v[19:20], v[21:22], v[11:12], -v[19:20]
	v_fma_f64 v[11:12], v[11:12], v[23:24], v[56:57]
	s_waitcnt vmcnt(1)
	v_mul_f64 v[21:22], v[2:3], v[31:32]
	s_waitcnt vmcnt(0)
	v_mul_f64 v[23:24], v[27:28], v[40:41]
	v_mul_f64 v[31:32], v[0:1], v[31:32]
	;; [unrolled: 1-line block ×3, first 2 shown]
	v_mov_b32_e32 v45, v35
	v_add_f64 v[35:36], v[54:55], -v[42:43]
	v_add_f64 v[56:57], v[17:18], v[19:20]
	v_add_f64 v[58:59], v[9:10], -v[11:12]
	v_fma_f64 v[21:22], v[0:1], v[29:30], -v[21:22]
	v_fma_f64 v[23:24], v[25:26], v[38:39], -v[23:24]
	v_fma_f64 v[25:26], v[29:30], v[2:3], v[31:32]
	v_fma_f64 v[27:28], v[38:39], v[27:28], v[40:41]
	v_add_f64 v[0:1], v[54:55], v[42:43]
	v_add_f64 v[2:3], v[54:55], v[48:49]
	v_add_f64 v[29:30], v[33:34], -v[52:53]
	v_add_f64 v[31:32], v[33:34], v[52:53]
	v_add_f64 v[33:34], v[33:34], v[46:47]
	;; [unrolled: 1-line block ×3, first 2 shown]
	v_add_f64 v[38:39], v[17:18], -v[19:20]
	s_waitcnt lgkmcnt(0)
	v_add_f64 v[54:55], v[9:10], v[15:16]
	v_add_f64 v[8:9], v[17:18], v[13:14]
	v_fma_f64 v[17:18], v[0:1], -0.5, v[48:49]
	v_add_f64 v[48:49], v[25:26], v[27:28]
	v_add_f64 v[2:3], v[42:43], v[2:3]
	;; [unrolled: 1-line block ×3, first 2 shown]
	v_fma_f64 v[31:32], v[31:32], -0.5, v[46:47]
	v_add_f64 v[46:47], v[21:22], -v[23:24]
	v_add_f64 v[0:1], v[52:53], v[33:34]
	v_add_f64 v[33:34], v[25:26], v[6:7]
	v_add_f64 v[52:53], v[25:26], -v[27:28]
	v_add_f64 v[21:22], v[21:22], v[4:5]
	v_fma_f64 v[25:26], v[40:41], -0.5, v[15:16]
	v_fma_f64 v[40:41], v[56:57], -0.5, v[13:14]
	;; [unrolled: 1-line block ×4, first 2 shown]
	v_add_f64 v[10:11], v[11:12], v[54:55]
	v_add_f64 v[6:7], v[27:28], v[33:34]
	;; [unrolled: 1-line block ×4, first 2 shown]
	v_fma_f64 v[22:23], v[38:39], s[6:7], v[25:26]
	v_fma_f64 v[26:27], v[38:39], s[12:13], v[25:26]
	v_mad_u64_u32 v[38:39], s[4:5], s8, v62, 0
	v_fma_f64 v[14:15], v[29:30], s[6:7], v[17:18]
	v_fma_f64 v[18:19], v[29:30], s[12:13], v[17:18]
	;; [unrolled: 1-line block ×4, first 2 shown]
	v_mov_b32_e32 v36, v39
	v_mov_b32_e32 v61, s3
	v_fma_f64 v[20:21], v[58:59], s[12:13], v[40:41]
	v_fma_f64 v[24:25], v[58:59], s[6:7], v[40:41]
	;; [unrolled: 1-line block ×6, first 2 shown]
	v_add_co_u32_e32 v46, vcc, s2, v50
	v_lshlrev_b64 v[40:41], 4, v[44:45]
	v_mad_u64_u32 v[42:43], s[2:3], s9, v62, v[36:37]
	v_addc_co_u32_e32 v47, vcc, v61, v51, vcc
	v_add_co_u32_e32 v39, vcc, v46, v40
	v_addc_co_u32_e32 v40, vcc, v47, v41, vcc
	global_store_dwordx4 v[39:40], v[0:3], off
	v_mov_b32_e32 v39, v42
	v_add_u32_e32 v3, 9, v37
	v_lshlrev_b64 v[0:1], 4, v[38:39]
	v_mul_hi_u32 v2, v3, s1
	v_add_co_u32_e32 v0, vcc, v46, v0
	v_addc_co_u32_e32 v1, vcc, v47, v1, vcc
	global_store_dwordx4 v[0:1], v[16:19], off
	s_nop 0
	v_sub_u32_e32 v17, v3, v2
	v_lshrrev_b32_e32 v17, 1, v17
	v_add_u32_e32 v16, 54, v60
	v_add_u32_e32 v2, v17, v2
	v_mad_u64_u32 v[0:1], s[2:3], s8, v16, 0
	v_lshrrev_b32_e32 v17, 4, v2
	v_mul_lo_u32 v18, v17, 27
	v_mad_u64_u32 v[1:2], s[2:3], s9, v16, v[1:2]
	v_sub_u32_e32 v2, v3, v18
	v_mad_u64_u32 v[2:3], s[2:3], v17, s0, v[2:3]
	v_lshlrev_b64 v[0:1], 4, v[0:1]
	v_mad_u64_u32 v[16:17], s[2:3], s8, v2, 0
	v_add_co_u32_e32 v0, vcc, v46, v0
	v_mov_b32_e32 v3, v17
	v_mad_u64_u32 v[17:18], s[2:3], s9, v2, v[3:4]
	v_add_u32_e32 v36, 27, v2
	v_addc_co_u32_e32 v1, vcc, v47, v1, vcc
	v_mad_u64_u32 v[18:19], s[2:3], s8, v36, 0
	global_store_dwordx4 v[0:1], v[12:15], off
	v_lshlrev_b64 v[0:1], 4, v[16:17]
	v_mov_b32_e32 v3, v19
	v_add_co_u32_e32 v0, vcc, v46, v0
	v_addc_co_u32_e32 v1, vcc, v47, v1, vcc
	v_mad_u64_u32 v[12:13], s[2:3], s9, v36, v[3:4]
	global_store_dwordx4 v[0:1], v[4:7], off
	v_mov_b32_e32 v19, v12
	v_add_u32_e32 v4, 18, v37
	v_mul_hi_u32 v5, v4, s1
	v_add_u32_e32 v6, 54, v2
	v_mad_u64_u32 v[2:3], s[2:3], s8, v6, 0
	v_sub_u32_e32 v7, v4, v5
	v_lshrrev_b32_e32 v7, 1, v7
	v_add_u32_e32 v5, v7, v5
	v_lshrrev_b32_e32 v5, 4, v5
	v_mul_lo_u32 v7, v5, 27
	v_lshlrev_b64 v[0:1], 4, v[18:19]
	v_add_co_u32_e32 v0, vcc, v46, v0
	v_sub_u32_e32 v4, v4, v7
	v_mad_u64_u32 v[4:5], s[0:1], v5, s0, v[4:5]
	v_addc_co_u32_e32 v1, vcc, v47, v1, vcc
	v_mad_u64_u32 v[5:6], s[0:1], s9, v6, v[3:4]
	v_mad_u64_u32 v[6:7], s[0:1], s8, v4, 0
	v_mov_b32_e32 v3, v5
	global_store_dwordx4 v[0:1], v[32:35], off
	v_lshlrev_b64 v[0:1], 4, v[2:3]
	v_mov_b32_e32 v2, v7
	v_mad_u64_u32 v[2:3], s[0:1], s9, v4, v[2:3]
	v_add_u32_e32 v5, 27, v4
	v_add_co_u32_e32 v0, vcc, v46, v0
	v_mov_b32_e32 v7, v2
	v_mad_u64_u32 v[2:3], s[0:1], s8, v5, 0
	v_addc_co_u32_e32 v1, vcc, v47, v1, vcc
	global_store_dwordx4 v[0:1], v[28:31], off
	v_lshlrev_b64 v[0:1], 4, v[6:7]
	v_mad_u64_u32 v[5:6], s[0:1], s9, v5, v[3:4]
	v_add_u32_e32 v4, 54, v4
	v_mad_u64_u32 v[6:7], s[0:1], s8, v4, 0
	v_add_co_u32_e32 v0, vcc, v46, v0
	v_addc_co_u32_e32 v1, vcc, v47, v1, vcc
	v_mov_b32_e32 v3, v5
	global_store_dwordx4 v[0:1], v[8:11], off
	v_lshlrev_b64 v[0:1], 4, v[2:3]
	v_mov_b32_e32 v2, v7
	v_mad_u64_u32 v[2:3], s[0:1], s9, v4, v[2:3]
	v_add_co_u32_e32 v0, vcc, v46, v0
	v_addc_co_u32_e32 v1, vcc, v47, v1, vcc
	v_mov_b32_e32 v7, v2
	global_store_dwordx4 v[0:1], v[24:27], off
	v_lshlrev_b64 v[0:1], 4, v[6:7]
	v_add_co_u32_e32 v0, vcc, v46, v0
	v_addc_co_u32_e32 v1, vcc, v47, v1, vcc
	global_store_dwordx4 v[0:1], v[20:23], off
.LBB0_6:
	s_endpgm
	.section	.rodata,"a",@progbits
	.p2align	6, 0x0
	.amdhsa_kernel fft_rtc_fwd_len81_factors_9_3_3_wgs_189_tpt_9_dim1_dp_op_CI_CI_sbrr_dirReg
		.amdhsa_group_segment_fixed_size 0
		.amdhsa_private_segment_fixed_size 0
		.amdhsa_kernarg_size 96
		.amdhsa_user_sgpr_count 6
		.amdhsa_user_sgpr_private_segment_buffer 1
		.amdhsa_user_sgpr_dispatch_ptr 0
		.amdhsa_user_sgpr_queue_ptr 0
		.amdhsa_user_sgpr_kernarg_segment_ptr 1
		.amdhsa_user_sgpr_dispatch_id 0
		.amdhsa_user_sgpr_flat_scratch_init 0
		.amdhsa_user_sgpr_private_segment_size 0
		.amdhsa_uses_dynamic_stack 0
		.amdhsa_system_sgpr_private_segment_wavefront_offset 0
		.amdhsa_system_sgpr_workgroup_id_x 1
		.amdhsa_system_sgpr_workgroup_id_y 0
		.amdhsa_system_sgpr_workgroup_id_z 0
		.amdhsa_system_sgpr_workgroup_info 0
		.amdhsa_system_vgpr_workitem_id 0
		.amdhsa_next_free_vgpr 64
		.amdhsa_next_free_sgpr 22
		.amdhsa_reserve_vcc 1
		.amdhsa_reserve_flat_scratch 0
		.amdhsa_float_round_mode_32 0
		.amdhsa_float_round_mode_16_64 0
		.amdhsa_float_denorm_mode_32 3
		.amdhsa_float_denorm_mode_16_64 3
		.amdhsa_dx10_clamp 1
		.amdhsa_ieee_mode 1
		.amdhsa_fp16_overflow 0
		.amdhsa_exception_fp_ieee_invalid_op 0
		.amdhsa_exception_fp_denorm_src 0
		.amdhsa_exception_fp_ieee_div_zero 0
		.amdhsa_exception_fp_ieee_overflow 0
		.amdhsa_exception_fp_ieee_underflow 0
		.amdhsa_exception_fp_ieee_inexact 0
		.amdhsa_exception_int_div_zero 0
	.end_amdhsa_kernel
	.text
.Lfunc_end0:
	.size	fft_rtc_fwd_len81_factors_9_3_3_wgs_189_tpt_9_dim1_dp_op_CI_CI_sbrr_dirReg, .Lfunc_end0-fft_rtc_fwd_len81_factors_9_3_3_wgs_189_tpt_9_dim1_dp_op_CI_CI_sbrr_dirReg
                                        ; -- End function
	.section	.AMDGPU.csdata,"",@progbits
; Kernel info:
; codeLenInByte = 4092
; NumSgprs: 26
; NumVgprs: 64
; ScratchSize: 0
; MemoryBound: 1
; FloatMode: 240
; IeeeMode: 1
; LDSByteSize: 0 bytes/workgroup (compile time only)
; SGPRBlocks: 3
; VGPRBlocks: 15
; NumSGPRsForWavesPerEU: 26
; NumVGPRsForWavesPerEU: 64
; Occupancy: 4
; WaveLimiterHint : 1
; COMPUTE_PGM_RSRC2:SCRATCH_EN: 0
; COMPUTE_PGM_RSRC2:USER_SGPR: 6
; COMPUTE_PGM_RSRC2:TRAP_HANDLER: 0
; COMPUTE_PGM_RSRC2:TGID_X_EN: 1
; COMPUTE_PGM_RSRC2:TGID_Y_EN: 0
; COMPUTE_PGM_RSRC2:TGID_Z_EN: 0
; COMPUTE_PGM_RSRC2:TIDIG_COMP_CNT: 0
	.type	__hip_cuid_a1f680b7e4ffb810,@object ; @__hip_cuid_a1f680b7e4ffb810
	.section	.bss,"aw",@nobits
	.globl	__hip_cuid_a1f680b7e4ffb810
__hip_cuid_a1f680b7e4ffb810:
	.byte	0                               ; 0x0
	.size	__hip_cuid_a1f680b7e4ffb810, 1

	.ident	"AMD clang version 19.0.0git (https://github.com/RadeonOpenCompute/llvm-project roc-6.4.0 25133 c7fe45cf4b819c5991fe208aaa96edf142730f1d)"
	.section	".note.GNU-stack","",@progbits
	.addrsig
	.addrsig_sym __hip_cuid_a1f680b7e4ffb810
	.amdgpu_metadata
---
amdhsa.kernels:
  - .args:
      - .actual_access:  read_only
        .address_space:  global
        .offset:         0
        .size:           8
        .value_kind:     global_buffer
      - .actual_access:  read_only
        .address_space:  global
        .offset:         8
        .size:           8
        .value_kind:     global_buffer
      - .actual_access:  read_only
        .address_space:  global
        .offset:         16
        .size:           8
        .value_kind:     global_buffer
      - .actual_access:  read_only
        .address_space:  global
        .offset:         24
        .size:           8
        .value_kind:     global_buffer
      - .offset:         32
        .size:           8
        .value_kind:     by_value
      - .actual_access:  read_only
        .address_space:  global
        .offset:         40
        .size:           8
        .value_kind:     global_buffer
      - .actual_access:  read_only
        .address_space:  global
        .offset:         48
        .size:           8
        .value_kind:     global_buffer
      - .offset:         56
        .size:           4
        .value_kind:     by_value
      - .actual_access:  read_only
        .address_space:  global
        .offset:         64
        .size:           8
        .value_kind:     global_buffer
      - .actual_access:  read_only
        .address_space:  global
        .offset:         72
        .size:           8
        .value_kind:     global_buffer
      - .actual_access:  read_only
        .address_space:  global
        .offset:         80
        .size:           8
        .value_kind:     global_buffer
      - .actual_access:  write_only
        .address_space:  global
        .offset:         88
        .size:           8
        .value_kind:     global_buffer
    .group_segment_fixed_size: 0
    .kernarg_segment_align: 8
    .kernarg_segment_size: 96
    .language:       OpenCL C
    .language_version:
      - 2
      - 0
    .max_flat_workgroup_size: 189
    .name:           fft_rtc_fwd_len81_factors_9_3_3_wgs_189_tpt_9_dim1_dp_op_CI_CI_sbrr_dirReg
    .private_segment_fixed_size: 0
    .sgpr_count:     26
    .sgpr_spill_count: 0
    .symbol:         fft_rtc_fwd_len81_factors_9_3_3_wgs_189_tpt_9_dim1_dp_op_CI_CI_sbrr_dirReg.kd
    .uniform_work_group_size: 1
    .uses_dynamic_stack: false
    .vgpr_count:     64
    .vgpr_spill_count: 0
    .wavefront_size: 64
amdhsa.target:   amdgcn-amd-amdhsa--gfx906
amdhsa.version:
  - 1
  - 2
...

	.end_amdgpu_metadata
